;; amdgpu-corpus repo=llvm/llvm-project kind=harvested arch=n/a opt=n/a
// NOTE: Assertions have been autogenerated by utils/update_mc_test_checks.py UTC_ARGS: --unique --version 5
// RUN: llvm-mc -triple=amdgcn -mcpu=gfx1170 -mattr=+real-true16 -show-encoding %s | FileCheck --check-prefixes=GFX1170 %s
// RUN: llvm-mc -triple=amdgcn -mcpu=gfx1170 -mattr=+real-true16 -show-encoding %s | %extract-encodings | llvm-mc -triple=amdgcn -mcpu=gfx1170 -mattr=+real-true16 -disassemble -show-encoding | FileCheck --strict-whitespace --check-prefixes=GFX1170 %s

v_min3_f32 v5, v1, v2, v3
// GFX1170: v_min3_num_f32 v5, v1, v2, v3           ; encoding: [0x05,0x00,0x19,0xd6,0x01,0x05,0x0e,0x04]

v_max3_f32 v5, v1, v2, v3
// GFX1170: v_max3_num_f32 v5, v1, v2, v3           ; encoding: [0x05,0x00,0x1c,0xd6,0x01,0x05,0x0e,0x04]

v_min3_f16 v5.l, v1.l, v2.l, v3.l
// GFX1170: v_min3_num_f16 v5.l, v1.l, v2.l, v3.l   ; encoding: [0x05,0x00,0x49,0xd6,0x01,0x05,0x0e,0x04]

v_max3_f16 v5.l, v1.l, v2.l, v3.l
// GFX1170: v_max3_num_f16 v5.l, v1.l, v2.l, v3.l   ; encoding: [0x05,0x00,0x4c,0xd6,0x01,0x05,0x0e,0x04]

v_med3_f32 v5, v1, v2, v3
// GFX1170: v_med3_num_f32 v5, v1, v2, v3           ; encoding: [0x05,0x00,0x31,0xd6,0x01,0x05,0x0e,0x04]

v_med3_f16 v5.l, v1.l, v2.l, v3.l
// GFX1170: v_med3_num_f16 v5.l, v1.l, v2.l, v3.l   ; encoding: [0x05,0x00,0x32,0xd6,0x01,0x05,0x0e,0x04]

v_minmax_f32_e64_dpp v0, -v1, -v2, -v3 dpp8:[0,1,2,3,4,5,6,7]
// GFX1170: v_minmax_num_f32_e64_dpp v0, -v1, -v2, -v3 dpp8:[0,1,2,3,4,5,6,7] ; encoding: [0x00,0x00,0x5f,0xd6,0xe9,0x04,0x0e,0xe4,0x01,0x88,0xc6,0xfa]

v_maxmin_f32_e64_dpp v0, v1, v2, v3 clamp dpp8:[0,1,2,3,4,5,6,7]
// GFX1170: v_maxmin_num_f32_e64_dpp v0, v1, v2, v3 clamp dpp8:[0,1,2,3,4,5,6,7] ; encoding: [0x00,0x80,0x5e,0xd6,0xe9,0x04,0x0e,0x04,0x01,0x88,0xc6,0xfa]

v_minmax_f16_e64_dpp v5.l, v1.l, v2.l, v3.l quad_perm:[3,2,1,0]
// GFX1170: v_minmax_num_f16_e64_dpp v5.l, v1.l, v2.l, v3.l quad_perm:[3,2,1,0] row_mask:0xf bank_mask:0xf ; encoding: [0x05,0x00,0x61,0xd6,0xfa,0x04,0x0e,0x04,0x01,0x1b,0x00,0xff]

v_maxmin_f16_e64_dpp v5.l, v1.l, v2.l, v3.l quad_perm:[3,2,1,0]
// GFX1170: v_maxmin_num_f16_e64_dpp v5.l, v1.l, v2.l, v3.l quad_perm:[3,2,1,0] row_mask:0xf bank_mask:0xf ; encoding: [0x05,0x00,0x60,0xd6,0xfa,0x04,0x0e,0x04,0x01,0x1b,0x00,0xff]

v_max_f64 v[5:6], s[2:3], s[4:5]
// GFX1170: v_max_num_f64 v[5:6], s[2:3], s[4:5]    ; encoding: [0x05,0x00,0x2a,0xd7,0x02,0x08,0x00,0x02]

v_min_f64 v[5:6], s[2:3], s[4:5]
// GFX1170: v_min_num_f64 v[5:6], s[2:3], s[4:5]    ; encoding: [0x05,0x00,0x29,0xd7,0x02,0x08,0x00,0x02]
